;; amdgpu-corpus repo=ROCm/rocFFT kind=compiled arch=gfx906 opt=O3
	.text
	.amdgcn_target "amdgcn-amd-amdhsa--gfx906"
	.amdhsa_code_object_version 6
	.protected	fft_rtc_back_len100_factors_5_5_4_wgs_100_tpt_25_dp_op_CI_CI_sbrc_xy_z_aligned_dirReg ; -- Begin function fft_rtc_back_len100_factors_5_5_4_wgs_100_tpt_25_dp_op_CI_CI_sbrc_xy_z_aligned_dirReg
	.globl	fft_rtc_back_len100_factors_5_5_4_wgs_100_tpt_25_dp_op_CI_CI_sbrc_xy_z_aligned_dirReg
	.p2align	8
	.type	fft_rtc_back_len100_factors_5_5_4_wgs_100_tpt_25_dp_op_CI_CI_sbrc_xy_z_aligned_dirReg,@function
fft_rtc_back_len100_factors_5_5_4_wgs_100_tpt_25_dp_op_CI_CI_sbrc_xy_z_aligned_dirReg: ; @fft_rtc_back_len100_factors_5_5_4_wgs_100_tpt_25_dp_op_CI_CI_sbrc_xy_z_aligned_dirReg
; %bb.0:
	s_load_dwordx4 s[0:3], s[4:5], 0x10
	s_load_dwordx2 s[16:17], s[4:5], 0x20
	s_mov_b32 s7, 0
	s_mov_b32 s21, s7
	s_waitcnt lgkmcnt(0)
	s_load_dwordx4 s[12:15], s[0:1], 0x8
	s_load_dwordx4 s[8:11], s[2:3], 0x0
	s_waitcnt lgkmcnt(0)
	s_add_i32 s0, s14, -1
	s_lshr_b32 s0, s0, 2
	s_add_i32 s0, s0, 1
	s_mul_i32 s18, s0, s12
	s_load_dwordx2 s[0:1], s[2:3], 0x10
	v_cvt_f32_u32_e32 v1, s18
	s_waitcnt lgkmcnt(0)
	s_sub_i32 s1, 0, s18
	s_load_dwordx2 s[14:15], s[4:5], 0x58
	v_rcp_iflag_f32_e32 v1, v1
	v_mul_f32_e32 v1, 0x4f7ffffe, v1
	v_cvt_u32_f32_e32 v3, v1
	v_mov_b32_e32 v1, s12
	v_mov_b32_e32 v2, s13
	v_readfirstlane_b32 s11, v3
	s_mul_i32 s1, s1, s11
	s_mul_hi_u32 s1, s11, s1
	s_add_i32 s11, s11, s1
	s_mul_hi_u32 s1, s6, s11
	s_mul_i32 s11, s1, s18
	s_sub_i32 s11, s6, s11
	s_add_i32 s19, s1, 1
	s_sub_i32 s20, s11, s18
	s_cmp_ge_u32 s11, s18
	s_cselect_b32 s1, s19, s1
	s_cselect_b32 s11, s20, s11
	s_add_i32 s19, s1, 1
	s_cmp_ge_u32 s11, s18
	s_cselect_b32 s26, s19, s1
	s_mul_i32 s1, s26, s18
	s_sub_i32 s20, s6, s1
	v_cmp_lt_u64_e32 vcc, s[20:21], v[1:2]
	v_cvt_f32_u32_e32 v1, s12
	s_mov_b64 s[18:19], 0
	s_cbranch_vccnz .LBB0_2
; %bb.1:
	v_rcp_iflag_f32_e32 v2, v1
	s_sub_i32 s1, 0, s12
	v_mul_f32_e32 v2, 0x4f7ffffe, v2
	v_cvt_u32_f32_e32 v2, v2
	v_readfirstlane_b32 s11, v2
	s_mul_i32 s1, s1, s11
	s_mul_hi_u32 s1, s11, s1
	s_add_i32 s11, s11, s1
	s_mul_hi_u32 s1, s20, s11
	s_mul_i32 s18, s1, s12
	s_sub_i32 s18, s20, s18
	s_add_i32 s11, s1, 1
	s_sub_i32 s19, s18, s12
	s_cmp_ge_u32 s18, s12
	s_cselect_b32 s1, s11, s1
	s_cselect_b32 s18, s19, s18
	s_add_i32 s11, s1, 1
	s_cmp_ge_u32 s18, s12
	s_cselect_b32 s18, s11, s1
.LBB0_2:
	v_mov_b32_e32 v2, s12
	v_mov_b32_e32 v3, s13
	v_cmp_lt_u64_e32 vcc, s[6:7], v[2:3]
	s_cbranch_vccnz .LBB0_4
; %bb.3:
	v_rcp_iflag_f32_e32 v1, v1
	s_sub_i32 s1, 0, s12
	v_mul_f32_e32 v1, 0x4f7ffffe, v1
	v_cvt_u32_f32_e32 v1, v1
	v_readfirstlane_b32 s7, v1
	s_mul_i32 s1, s1, s7
	s_mul_hi_u32 s1, s7, s1
	s_add_i32 s7, s7, s1
	s_mul_hi_u32 s1, s6, s7
	s_mul_i32 s1, s1, s12
	s_sub_i32 s1, s6, s1
	s_sub_i32 s6, s1, s12
	s_cmp_ge_u32 s1, s12
	s_cselect_b32 s1, s6, s1
	s_sub_i32 s6, s1, s12
	s_cmp_ge_u32 s1, s12
	s_cselect_b32 s6, s6, s1
.LBB0_4:
	s_load_dwordx2 s[12:13], s[4:5], 0x8
	s_lshl_b32 s7, s18, 2
	s_mul_i32 s1, s6, s10
	s_mul_i32 s10, s7, s0
	s_add_i32 s18, s1, s10
	s_waitcnt lgkmcnt(0)
	s_lshl_b64 s[10:11], s[12:13], 3
	s_add_u32 s2, s2, s10
	s_addc_u32 s3, s3, s11
	v_mul_u32_u24_e32 v1, 0x290, v0
	s_load_dwordx2 s[2:3], s[2:3], 0x0
	v_lshrrev_b32_e32 v24, 16, v1
	v_mul_lo_u16_e32 v1, 0x64, v24
	v_sub_u16_e32 v21, v0, v1
	v_mad_u64_u32 v[1:2], s[12:13], s8, v21, 0
	s_waitcnt lgkmcnt(0)
	s_mul_i32 s1, s3, s26
	s_mul_hi_u32 s3, s2, s26
	s_add_i32 s3, s3, s1
	v_mad_u64_u32 v[2:3], s[8:9], s9, v21, v[2:3]
	s_mul_i32 s2, s2, s26
	s_add_u32 s10, s16, s10
	s_addc_u32 s11, s17, s11
	s_lshl_b64 s[2:3], s[2:3], 4
	s_mov_b32 s19, 0
	s_add_u32 s1, s14, s2
	v_mul_lo_u32 v9, s0, v24
	s_addc_u32 s8, s15, s3
	s_lshl_b64 s[2:3], s[18:19], 4
	s_add_u32 s1, s1, s2
	v_lshlrev_b64 v[1:2], 4, v[1:2]
	s_addc_u32 s2, s8, s3
	v_mov_b32_e32 v10, 0
	v_mov_b32_e32 v3, s2
	v_add_co_u32_e32 v15, vcc, s1, v1
	v_addc_co_u32_e32 v16, vcc, v3, v2, vcc
	v_lshlrev_b64 v[1:2], 4, v[9:10]
	v_add_u32_e32 v9, s0, v9
	v_add_co_u32_e32 v11, vcc, v15, v1
	v_addc_co_u32_e32 v12, vcc, v16, v2, vcc
	v_lshlrev_b64 v[1:2], 4, v[9:10]
	v_add_u32_e32 v9, s0, v9
	v_add_co_u32_e32 v13, vcc, v15, v1
	v_addc_co_u32_e32 v14, vcc, v16, v2, vcc
	global_load_dwordx4 v[1:4], v[11:12], off
	global_load_dwordx4 v[5:8], v[13:14], off
	v_lshlrev_b64 v[11:12], 4, v[9:10]
	v_add_u32_e32 v9, s0, v9
	v_add_co_u32_e32 v17, vcc, v15, v11
	v_lshlrev_b64 v[9:10], 4, v[9:10]
	v_addc_co_u32_e32 v18, vcc, v16, v12, vcc
	v_add_co_u32_e32 v19, vcc, v15, v9
	v_addc_co_u32_e32 v20, vcc, v16, v10, vcc
	global_load_dwordx4 v[9:12], v[17:18], off
	global_load_dwordx4 v[13:16], v[19:20], off
	v_lshrrev_b32_e32 v23, 2, v0
	v_and_b32_e32 v22, 3, v0
	v_lshl_add_u32 v26, v23, 6, 0
	v_lshlrev_b32_e32 v17, 4, v24
	v_lshlrev_b32_e32 v18, 6, v21
	v_lshl_add_u32 v24, v22, 4, v26
	v_add3_u32 v17, 0, v18, v17
	s_load_dwordx4 s[0:3], s[16:17], 0x0
	s_load_dwordx2 s[8:9], s[16:17], 0x10
	s_mov_b32 s12, 0x134454ff
	s_load_dwordx2 s[10:11], s[10:11], 0x0
	s_mov_b32 s13, 0xbfee6f0e
	s_mov_b32 s15, 0x3fee6f0e
	;; [unrolled: 1-line block ×7, first 2 shown]
	s_waitcnt lgkmcnt(0)
	s_movk_i32 s3, 0x50
	v_cmp_gt_u32_e32 vcc, s3, v0
	v_lshlrev_b32_e32 v25, 4, v22
	s_waitcnt vmcnt(3)
	ds_write_b128 v17, v[1:4]
	s_waitcnt vmcnt(2)
	ds_write_b128 v17, v[5:8] offset:16
	s_waitcnt vmcnt(1)
	ds_write_b128 v17, v[9:12] offset:32
	;; [unrolled: 2-line block ×3, first 2 shown]
	s_waitcnt lgkmcnt(0)
	s_barrier
	ds_read_b128 v[1:4], v24
	ds_read_b128 v[5:8], v24 offset:1280
	ds_read_b128 v[9:12], v24 offset:2560
	;; [unrolled: 1-line block ×4, first 2 shown]
	s_waitcnt lgkmcnt(0)
	v_add_f64 v[27:28], v[1:2], v[5:6]
	v_add_f64 v[29:30], v[3:4], v[7:8]
	;; [unrolled: 1-line block ×3, first 2 shown]
	v_add_f64 v[33:34], v[11:12], -v[15:16]
	v_add_f64 v[35:36], v[5:6], -v[9:10]
	;; [unrolled: 1-line block ×3, first 2 shown]
	v_add_f64 v[39:40], v[11:12], v[15:16]
	v_add_f64 v[41:42], v[9:10], -v[13:14]
	v_add_f64 v[43:44], v[7:8], -v[11:12]
	;; [unrolled: 1-line block ×4, first 2 shown]
	v_add_f64 v[49:50], v[5:6], v[17:18]
	v_add_f64 v[7:8], v[7:8], v[19:20]
	;; [unrolled: 1-line block ×4, first 2 shown]
	v_fma_f64 v[27:28], v[31:32], -0.5, v[1:2]
	v_add_f64 v[5:6], v[5:6], -v[17:18]
	v_add_f64 v[51:52], v[17:18], -v[13:14]
	;; [unrolled: 1-line block ×3, first 2 shown]
	v_fma_f64 v[1:2], v[49:50], -0.5, v[1:2]
	v_fma_f64 v[29:30], v[39:40], -0.5, v[3:4]
	v_fma_f64 v[7:8], v[7:8], -0.5, v[3:4]
	v_add_f64 v[3:4], v[9:10], v[13:14]
	v_add_f64 v[9:10], v[11:12], v[15:16]
	v_fma_f64 v[11:12], v[47:48], s[12:13], v[27:28]
	v_fma_f64 v[13:14], v[47:48], s[14:15], v[27:28]
	v_add_f64 v[55:56], v[19:20], -v[15:16]
	v_add_f64 v[57:58], v[15:16], -v[19:20]
	v_fma_f64 v[15:16], v[33:34], s[14:15], v[1:2]
	v_fma_f64 v[27:28], v[5:6], s[14:15], v[29:30]
	;; [unrolled: 1-line block ×4, first 2 shown]
	v_add_f64 v[1:2], v[3:4], v[17:18]
	v_add_f64 v[3:4], v[9:10], v[19:20]
	v_fma_f64 v[9:10], v[33:34], s[16:17], v[11:12]
	v_fma_f64 v[11:12], v[33:34], s[18:19], v[13:14]
	;; [unrolled: 1-line block ×4, first 2 shown]
	v_add_f64 v[31:32], v[35:36], v[51:52]
	v_add_f64 v[35:36], v[43:44], v[55:56]
	v_fma_f64 v[17:18], v[41:42], s[18:19], v[27:28]
	v_fma_f64 v[19:20], v[41:42], s[16:17], v[29:30]
	v_add_f64 v[27:28], v[37:38], v[53:54]
	v_fma_f64 v[15:16], v[47:48], s[16:17], v[15:16]
	v_fma_f64 v[29:30], v[47:48], s[18:19], v[39:40]
	;; [unrolled: 3-line block ×3, first 2 shown]
	s_mov_b32 s12, 0x372fe950
	s_mov_b32 s13, 0x3fd3c6ef
	v_fma_f64 v[5:6], v[31:32], s[12:13], v[9:10]
	v_fma_f64 v[7:8], v[35:36], s[12:13], v[17:18]
	;; [unrolled: 1-line block ×8, first 2 shown]
	s_barrier
	s_and_saveexec_b64 s[12:13], vcc
	s_cbranch_execz .LBB0_6
; %bb.5:
	v_lshlrev_b32_e32 v27, 8, v23
	v_add3_u32 v26, v26, v27, v25
	ds_write_b128 v26, v[1:4]
	ds_write_b128 v26, v[5:8] offset:64
	ds_write_b128 v26, v[9:12] offset:128
	;; [unrolled: 1-line block ×4, first 2 shown]
.LBB0_6:
	s_or_b64 exec, exec, s[12:13]
	s_load_dwordx2 s[12:13], s[4:5], 0x60
	s_load_dwordx2 s[14:15], s[4:5], 0x0
	s_waitcnt lgkmcnt(0)
	s_barrier
	s_and_saveexec_b64 s[4:5], vcc
	s_cbranch_execz .LBB0_8
; %bb.7:
	ds_read_b128 v[1:4], v24
	ds_read_b128 v[5:8], v24 offset:1280
	ds_read_b128 v[9:12], v24 offset:2560
	;; [unrolled: 1-line block ×4, first 2 shown]
.LBB0_8:
	s_or_b64 exec, exec, s[4:5]
	s_waitcnt lgkmcnt(0)
	s_barrier
	s_and_saveexec_b64 s[4:5], vcc
	s_cbranch_execz .LBB0_10
; %bb.9:
	v_mul_lo_u16_e32 v26, 52, v23
	v_lshrrev_b16_e32 v58, 8, v26
	v_mul_lo_u16_e32 v26, 5, v58
	v_sub_u16_e32 v59, v23, v26
	v_lshlrev_b16_e32 v26, 2, v59
	v_and_b32_e32 v26, 0xfc, v26
	v_lshlrev_b32_e32 v42, 4, v26
	global_load_dwordx4 v[26:29], v42, s[14:15] offset:16
	global_load_dwordx4 v[30:33], v42, s[14:15]
	global_load_dwordx4 v[34:37], v42, s[14:15] offset:32
	global_load_dwordx4 v[38:41], v42, s[14:15] offset:48
	s_mov_b32 s18, 0x134454ff
	s_mov_b32 s19, 0x3fee6f0e
	;; [unrolled: 1-line block ×10, first 2 shown]
	v_mov_b32_e32 v60, 6
	s_waitcnt vmcnt(3)
	v_mul_f64 v[42:43], v[9:10], v[28:29]
	s_waitcnt vmcnt(2)
	v_mul_f64 v[44:45], v[5:6], v[32:33]
	;; [unrolled: 2-line block ×4, first 2 shown]
	v_mul_f64 v[28:29], v[11:12], v[28:29]
	v_mul_f64 v[36:37], v[15:16], v[36:37]
	;; [unrolled: 1-line block ×4, first 2 shown]
	v_fma_f64 v[11:12], v[11:12], v[26:27], -v[42:43]
	v_fma_f64 v[7:8], v[7:8], v[30:31], -v[44:45]
	;; [unrolled: 1-line block ×4, first 2 shown]
	v_fma_f64 v[9:10], v[9:10], v[26:27], v[28:29]
	v_fma_f64 v[13:14], v[13:14], v[34:35], v[36:37]
	;; [unrolled: 1-line block ×4, first 2 shown]
	v_add_f64 v[26:27], v[11:12], -v[7:8]
	v_add_f64 v[36:37], v[7:8], -v[11:12]
	;; [unrolled: 1-line block ×3, first 2 shown]
	v_add_f64 v[32:33], v[7:8], v[19:20]
	v_add_f64 v[38:39], v[19:20], -v[15:16]
	v_add_f64 v[40:41], v[11:12], v[15:16]
	v_add_f64 v[48:49], v[5:6], v[17:18]
	;; [unrolled: 1-line block ×4, first 2 shown]
	v_add_f64 v[34:35], v[5:6], -v[17:18]
	v_add_f64 v[44:45], v[9:10], -v[5:6]
	;; [unrolled: 1-line block ×3, first 2 shown]
	v_add_f64 v[5:6], v[1:2], v[5:6]
	v_add_f64 v[30:31], v[9:10], -v[13:14]
	v_add_f64 v[46:47], v[13:14], -v[17:18]
	;; [unrolled: 1-line block ×3, first 2 shown]
	v_add_f64 v[26:27], v[26:27], v[28:29]
	v_fma_f64 v[28:29], v[32:33], -0.5, v[3:4]
	v_add_f64 v[32:33], v[36:37], v[38:39]
	v_fma_f64 v[3:4], v[40:41], -0.5, v[3:4]
	v_fma_f64 v[38:39], v[48:49], -0.5, v[1:2]
	;; [unrolled: 1-line block ×3, first 2 shown]
	v_add_f64 v[50:51], v[11:12], -v[15:16]
	v_add_f64 v[11:12], v[42:43], v[11:12]
	v_add_f64 v[5:6], v[5:6], v[9:10]
	v_add_f64 v[54:55], v[17:18], -v[13:14]
	v_add_f64 v[36:37], v[44:45], v[46:47]
	v_fma_f64 v[9:10], v[30:31], s[18:19], v[28:29]
	v_fma_f64 v[28:29], v[30:31], s[24:25], v[28:29]
	;; [unrolled: 1-line block ×6, first 2 shown]
	v_add_f64 v[11:12], v[11:12], v[15:16]
	v_fma_f64 v[15:16], v[50:51], s[24:25], v[38:39]
	v_fma_f64 v[38:39], v[50:51], s[18:19], v[38:39]
	v_add_f64 v[5:6], v[5:6], v[13:14]
	v_add_f64 v[40:41], v[52:53], v[54:55]
	v_fma_f64 v[13:14], v[34:35], s[22:23], v[28:29]
	v_fma_f64 v[28:29], v[30:31], s[20:21], v[42:43]
	;; [unrolled: 1-line block ×8, first 2 shown]
	v_add_f64 v[3:4], v[11:12], v[19:20]
	v_add_f64 v[1:2], v[5:6], v[17:18]
	v_fma_f64 v[19:20], v[32:33], s[16:17], v[30:31]
	v_fma_f64 v[17:18], v[40:41], s[16:17], v[42:43]
	;; [unrolled: 1-line block ×8, first 2 shown]
	v_mad_legacy_u16 v26, v58, 25, v59
	v_lshlrev_b32_sdwa v26, v60, v26 dst_sel:DWORD dst_unused:UNUSED_PAD src0_sel:DWORD src1_sel:BYTE_0
	v_add3_u32 v25, 0, v26, v25
	ds_write_b128 v25, v[1:4]
	ds_write_b128 v25, v[17:20] offset:320
	ds_write_b128 v25, v[9:12] offset:640
	;; [unrolled: 1-line block ×4, first 2 shown]
.LBB0_10:
	s_or_b64 exec, exec, s[4:5]
	v_mul_lo_u16_e32 v1, 21, v23
	v_lshrrev_b16_e32 v1, 9, v1
	v_mul_lo_u16_e32 v1, 25, v1
	v_sub_u16_e32 v33, v23, v1
	v_mov_b32_e32 v1, 3
	v_mul_u32_u24_sdwa v1, v33, v1 dst_sel:DWORD dst_unused:UNUSED_PAD src0_sel:BYTE_0 src1_sel:DWORD
	v_lshlrev_b32_e32 v13, 4, v1
	s_waitcnt lgkmcnt(0)
	s_barrier
	global_load_dwordx4 v[1:4], v13, s[14:15] offset:320
	global_load_dwordx4 v[5:8], v13, s[14:15] offset:336
	;; [unrolled: 1-line block ×3, first 2 shown]
	ds_read_b128 v[13:16], v24
	ds_read_b128 v[17:20], v24 offset:1600
	ds_read_b128 v[25:28], v24 offset:3200
	;; [unrolled: 1-line block ×3, first 2 shown]
	s_mul_i32 s4, s6, s8
	s_mul_i32 s3, s11, s26
	s_mul_hi_u32 s8, s10, s26
	v_or_b32_e32 v34, s7, v22
	s_add_i32 s7, s8, s3
	v_mad_u64_u32 v[23:24], s[8:9], s0, v34, 0
	s_mul_i32 s6, s10, s26
	s_lshl_b64 s[6:7], s[6:7], 4
	s_mov_b32 s5, 0
	v_sub_u32_e32 v0, v0, v21
	s_add_u32 s0, s12, s6
	v_add_u32_sdwa v21, v0, v33 dst_sel:DWORD dst_unused:UNUSED_PAD src0_sel:DWORD src1_sel:BYTE_0
	s_addc_u32 s3, s13, s7
	s_lshl_b64 s[4:5], s[4:5], 4
	v_mov_b32_e32 v0, v24
	s_mul_i32 s10, s2, 25
	v_mul_lo_u32 v21, v21, s2
	s_add_u32 s2, s0, s4
	v_mov_b32_e32 v22, 0
	s_waitcnt vmcnt(2) lgkmcnt(2)
	v_mul_f64 v[36:37], v[19:20], v[3:4]
	v_mul_f64 v[3:4], v[17:18], v[3:4]
	s_waitcnt vmcnt(1) lgkmcnt(1)
	v_mul_f64 v[38:39], v[27:28], v[7:8]
	v_mul_f64 v[7:8], v[25:26], v[7:8]
	;; [unrolled: 3-line block ×3, first 2 shown]
	v_mad_u64_u32 v[33:34], s[0:1], s1, v34, v[0:1]
	v_fma_f64 v[17:18], v[17:18], v[1:2], v[36:37]
	v_fma_f64 v[0:1], v[19:20], v[1:2], -v[3:4]
	v_fma_f64 v[2:3], v[25:26], v[5:6], v[38:39]
	v_fma_f64 v[4:5], v[27:28], v[5:6], -v[7:8]
	;; [unrolled: 2-line block ×3, first 2 shown]
	v_mov_b32_e32 v24, v33
	v_lshlrev_b64 v[10:11], 4, v[23:24]
	s_addc_u32 s0, s3, s5
	v_mov_b32_e32 v44, s0
	v_add_f64 v[23:24], v[13:14], -v[2:3]
	v_add_f64 v[25:26], v[15:16], -v[4:5]
	;; [unrolled: 1-line block ×4, first 2 shown]
	v_lshlrev_b64 v[34:35], 4, v[21:22]
	v_add_co_u32_e32 v29, vcc, s2, v10
	v_add_u32_e32 v21, s10, v21
	v_fma_f64 v[12:13], v[13:14], 2.0, -v[23:24]
	v_fma_f64 v[14:15], v[15:16], 2.0, -v[25:26]
	;; [unrolled: 1-line block ×4, first 2 shown]
	v_add_f64 v[0:1], v[23:24], v[4:5]
	v_add_f64 v[2:3], v[25:26], -v[2:3]
	v_addc_co_u32_e32 v30, vcc, v44, v11, vcc
	v_lshlrev_b64 v[42:43], 4, v[21:22]
	v_add_co_u32_e32 v16, vcc, v29, v34
	v_add_f64 v[4:5], v[12:13], -v[6:7]
	v_add_f64 v[6:7], v[14:15], -v[8:9]
	v_fma_f64 v[8:9], v[23:24], 2.0, -v[0:1]
	v_fma_f64 v[10:11], v[25:26], 2.0, -v[2:3]
	v_add_u32_e32 v21, s10, v21
	v_addc_co_u32_e32 v17, vcc, v30, v35, vcc
	v_lshlrev_b64 v[19:20], 4, v[21:22]
	v_fma_f64 v[12:13], v[12:13], 2.0, -v[4:5]
	v_fma_f64 v[14:15], v[14:15], 2.0, -v[6:7]
	v_add_co_u32_e32 v27, vcc, v29, v42
	v_add_u32_e32 v21, s10, v21
	v_addc_co_u32_e32 v28, vcc, v30, v43, vcc
	v_lshlrev_b64 v[21:22], 4, v[21:22]
	v_add_co_u32_e32 v18, vcc, v29, v19
	v_addc_co_u32_e32 v19, vcc, v30, v20, vcc
	v_add_co_u32_e32 v20, vcc, v29, v21
	v_addc_co_u32_e32 v21, vcc, v30, v22, vcc
	global_store_dwordx4 v[16:17], v[12:15], off
	global_store_dwordx4 v[27:28], v[8:11], off
	;; [unrolled: 1-line block ×4, first 2 shown]
	s_endpgm
	.section	.rodata,"a",@progbits
	.p2align	6, 0x0
	.amdhsa_kernel fft_rtc_back_len100_factors_5_5_4_wgs_100_tpt_25_dp_op_CI_CI_sbrc_xy_z_aligned_dirReg
		.amdhsa_group_segment_fixed_size 0
		.amdhsa_private_segment_fixed_size 0
		.amdhsa_kernarg_size 104
		.amdhsa_user_sgpr_count 6
		.amdhsa_user_sgpr_private_segment_buffer 1
		.amdhsa_user_sgpr_dispatch_ptr 0
		.amdhsa_user_sgpr_queue_ptr 0
		.amdhsa_user_sgpr_kernarg_segment_ptr 1
		.amdhsa_user_sgpr_dispatch_id 0
		.amdhsa_user_sgpr_flat_scratch_init 0
		.amdhsa_user_sgpr_private_segment_size 0
		.amdhsa_uses_dynamic_stack 0
		.amdhsa_system_sgpr_private_segment_wavefront_offset 0
		.amdhsa_system_sgpr_workgroup_id_x 1
		.amdhsa_system_sgpr_workgroup_id_y 0
		.amdhsa_system_sgpr_workgroup_id_z 0
		.amdhsa_system_sgpr_workgroup_info 0
		.amdhsa_system_vgpr_workitem_id 0
		.amdhsa_next_free_vgpr 61
		.amdhsa_next_free_sgpr 27
		.amdhsa_reserve_vcc 1
		.amdhsa_reserve_flat_scratch 0
		.amdhsa_float_round_mode_32 0
		.amdhsa_float_round_mode_16_64 0
		.amdhsa_float_denorm_mode_32 3
		.amdhsa_float_denorm_mode_16_64 3
		.amdhsa_dx10_clamp 1
		.amdhsa_ieee_mode 1
		.amdhsa_fp16_overflow 0
		.amdhsa_exception_fp_ieee_invalid_op 0
		.amdhsa_exception_fp_denorm_src 0
		.amdhsa_exception_fp_ieee_div_zero 0
		.amdhsa_exception_fp_ieee_overflow 0
		.amdhsa_exception_fp_ieee_underflow 0
		.amdhsa_exception_fp_ieee_inexact 0
		.amdhsa_exception_int_div_zero 0
	.end_amdhsa_kernel
	.text
.Lfunc_end0:
	.size	fft_rtc_back_len100_factors_5_5_4_wgs_100_tpt_25_dp_op_CI_CI_sbrc_xy_z_aligned_dirReg, .Lfunc_end0-fft_rtc_back_len100_factors_5_5_4_wgs_100_tpt_25_dp_op_CI_CI_sbrc_xy_z_aligned_dirReg
                                        ; -- End function
	.section	.AMDGPU.csdata,"",@progbits
; Kernel info:
; codeLenInByte = 2880
; NumSgprs: 31
; NumVgprs: 61
; ScratchSize: 0
; MemoryBound: 0
; FloatMode: 240
; IeeeMode: 1
; LDSByteSize: 0 bytes/workgroup (compile time only)
; SGPRBlocks: 3
; VGPRBlocks: 15
; NumSGPRsForWavesPerEU: 31
; NumVGPRsForWavesPerEU: 61
; Occupancy: 4
; WaveLimiterHint : 1
; COMPUTE_PGM_RSRC2:SCRATCH_EN: 0
; COMPUTE_PGM_RSRC2:USER_SGPR: 6
; COMPUTE_PGM_RSRC2:TRAP_HANDLER: 0
; COMPUTE_PGM_RSRC2:TGID_X_EN: 1
; COMPUTE_PGM_RSRC2:TGID_Y_EN: 0
; COMPUTE_PGM_RSRC2:TGID_Z_EN: 0
; COMPUTE_PGM_RSRC2:TIDIG_COMP_CNT: 0
	.type	__hip_cuid_aa97f56ccab8e275,@object ; @__hip_cuid_aa97f56ccab8e275
	.section	.bss,"aw",@nobits
	.globl	__hip_cuid_aa97f56ccab8e275
__hip_cuid_aa97f56ccab8e275:
	.byte	0                               ; 0x0
	.size	__hip_cuid_aa97f56ccab8e275, 1

	.ident	"AMD clang version 19.0.0git (https://github.com/RadeonOpenCompute/llvm-project roc-6.4.0 25133 c7fe45cf4b819c5991fe208aaa96edf142730f1d)"
	.section	".note.GNU-stack","",@progbits
	.addrsig
	.addrsig_sym __hip_cuid_aa97f56ccab8e275
	.amdgpu_metadata
---
amdhsa.kernels:
  - .args:
      - .actual_access:  read_only
        .address_space:  global
        .offset:         0
        .size:           8
        .value_kind:     global_buffer
      - .offset:         8
        .size:           8
        .value_kind:     by_value
      - .actual_access:  read_only
        .address_space:  global
        .offset:         16
        .size:           8
        .value_kind:     global_buffer
      - .actual_access:  read_only
        .address_space:  global
        .offset:         24
        .size:           8
        .value_kind:     global_buffer
      - .actual_access:  read_only
        .address_space:  global
        .offset:         32
        .size:           8
        .value_kind:     global_buffer
      - .offset:         40
        .size:           8
        .value_kind:     by_value
      - .actual_access:  read_only
        .address_space:  global
        .offset:         48
        .size:           8
        .value_kind:     global_buffer
      - .actual_access:  read_only
        .address_space:  global
        .offset:         56
        .size:           8
        .value_kind:     global_buffer
      - .offset:         64
        .size:           4
        .value_kind:     by_value
      - .actual_access:  read_only
        .address_space:  global
        .offset:         72
        .size:           8
        .value_kind:     global_buffer
      - .actual_access:  read_only
        .address_space:  global
        .offset:         80
        .size:           8
        .value_kind:     global_buffer
      - .actual_access:  read_only
        .address_space:  global
        .offset:         88
        .size:           8
        .value_kind:     global_buffer
      - .actual_access:  write_only
        .address_space:  global
        .offset:         96
        .size:           8
        .value_kind:     global_buffer
    .group_segment_fixed_size: 0
    .kernarg_segment_align: 8
    .kernarg_segment_size: 104
    .language:       OpenCL C
    .language_version:
      - 2
      - 0
    .max_flat_workgroup_size: 100
    .name:           fft_rtc_back_len100_factors_5_5_4_wgs_100_tpt_25_dp_op_CI_CI_sbrc_xy_z_aligned_dirReg
    .private_segment_fixed_size: 0
    .sgpr_count:     31
    .sgpr_spill_count: 0
    .symbol:         fft_rtc_back_len100_factors_5_5_4_wgs_100_tpt_25_dp_op_CI_CI_sbrc_xy_z_aligned_dirReg.kd
    .uniform_work_group_size: 1
    .uses_dynamic_stack: false
    .vgpr_count:     61
    .vgpr_spill_count: 0
    .wavefront_size: 64
amdhsa.target:   amdgcn-amd-amdhsa--gfx906
amdhsa.version:
  - 1
  - 2
...

	.end_amdgpu_metadata
